;; amdgpu-corpus repo=ROCm/rocFFT kind=compiled arch=gfx906 opt=O3
	.text
	.amdgcn_target "amdgcn-amd-amdhsa--gfx906"
	.amdhsa_code_object_version 6
	.protected	fft_rtc_fwd_len544_factors_17_2_16_wgs_102_tpt_34_halfLds_sp_op_CI_CI_unitstride_sbrr_R2C_dirReg ; -- Begin function fft_rtc_fwd_len544_factors_17_2_16_wgs_102_tpt_34_halfLds_sp_op_CI_CI_unitstride_sbrr_R2C_dirReg
	.globl	fft_rtc_fwd_len544_factors_17_2_16_wgs_102_tpt_34_halfLds_sp_op_CI_CI_unitstride_sbrr_R2C_dirReg
	.p2align	8
	.type	fft_rtc_fwd_len544_factors_17_2_16_wgs_102_tpt_34_halfLds_sp_op_CI_CI_unitstride_sbrr_R2C_dirReg,@function
fft_rtc_fwd_len544_factors_17_2_16_wgs_102_tpt_34_halfLds_sp_op_CI_CI_unitstride_sbrr_R2C_dirReg: ; @fft_rtc_fwd_len544_factors_17_2_16_wgs_102_tpt_34_halfLds_sp_op_CI_CI_unitstride_sbrr_R2C_dirReg
; %bb.0:
	s_load_dwordx4 s[8:11], s[4:5], 0x58
	s_load_dwordx4 s[12:15], s[4:5], 0x0
	;; [unrolled: 1-line block ×3, first 2 shown]
	v_mul_u32_u24_e32 v1, 0x788, v0
	v_lshrrev_b32_e32 v1, 16, v1
	v_mad_u64_u32 v[3:4], s[0:1], s6, 3, v[1:2]
	v_mov_b32_e32 v5, 0
	v_mov_b32_e32 v1, 0
	;; [unrolled: 1-line block ×3, first 2 shown]
	s_waitcnt lgkmcnt(0)
	v_cmp_lt_u64_e64 s[0:1], s[14:15], 2
	v_mov_b32_e32 v2, 0
	v_mov_b32_e32 v33, v2
	;; [unrolled: 1-line block ×3, first 2 shown]
	s_and_b64 vcc, exec, s[0:1]
	v_mov_b32_e32 v32, v1
	v_mov_b32_e32 v36, v3
	s_cbranch_vccnz .LBB0_8
; %bb.1:
	s_load_dwordx2 s[0:1], s[4:5], 0x10
	s_add_u32 s2, s18, 8
	s_addc_u32 s3, s19, 0
	s_add_u32 s6, s16, 8
	v_mov_b32_e32 v1, 0
	s_addc_u32 s7, s17, 0
	v_mov_b32_e32 v2, 0
	s_waitcnt lgkmcnt(0)
	s_add_u32 s20, s0, 8
	v_mov_b32_e32 v33, v2
	v_mov_b32_e32 v8, v4
	s_addc_u32 s21, s1, 0
	s_mov_b64 s[22:23], 1
	v_mov_b32_e32 v32, v1
	v_mov_b32_e32 v7, v3
.LBB0_2:                                ; =>This Inner Loop Header: Depth=1
	s_load_dwordx2 s[24:25], s[20:21], 0x0
                                        ; implicit-def: $vgpr36_vgpr37
	s_waitcnt lgkmcnt(0)
	v_or_b32_e32 v6, s25, v8
	v_cmp_ne_u64_e32 vcc, 0, v[5:6]
	s_and_saveexec_b64 s[0:1], vcc
	s_xor_b64 s[26:27], exec, s[0:1]
	s_cbranch_execz .LBB0_4
; %bb.3:                                ;   in Loop: Header=BB0_2 Depth=1
	v_cvt_f32_u32_e32 v4, s24
	v_cvt_f32_u32_e32 v6, s25
	s_sub_u32 s0, 0, s24
	s_subb_u32 s1, 0, s25
	v_mac_f32_e32 v4, 0x4f800000, v6
	v_rcp_f32_e32 v4, v4
	v_mul_f32_e32 v4, 0x5f7ffffc, v4
	v_mul_f32_e32 v6, 0x2f800000, v4
	v_trunc_f32_e32 v6, v6
	v_mac_f32_e32 v4, 0xcf800000, v6
	v_cvt_u32_f32_e32 v6, v6
	v_cvt_u32_f32_e32 v4, v4
	v_mul_lo_u32 v9, s0, v6
	v_mul_hi_u32 v10, s0, v4
	v_mul_lo_u32 v12, s1, v4
	v_mul_lo_u32 v11, s0, v4
	v_add_u32_e32 v9, v10, v9
	v_add_u32_e32 v9, v9, v12
	v_mul_hi_u32 v10, v4, v11
	v_mul_lo_u32 v12, v4, v9
	v_mul_hi_u32 v14, v4, v9
	v_mul_hi_u32 v13, v6, v11
	v_mul_lo_u32 v11, v6, v11
	v_mul_hi_u32 v15, v6, v9
	v_add_co_u32_e32 v10, vcc, v10, v12
	v_addc_co_u32_e32 v12, vcc, 0, v14, vcc
	v_mul_lo_u32 v9, v6, v9
	v_add_co_u32_e32 v10, vcc, v10, v11
	v_addc_co_u32_e32 v10, vcc, v12, v13, vcc
	v_addc_co_u32_e32 v11, vcc, 0, v15, vcc
	v_add_co_u32_e32 v9, vcc, v10, v9
	v_addc_co_u32_e32 v10, vcc, 0, v11, vcc
	v_add_co_u32_e32 v4, vcc, v4, v9
	v_addc_co_u32_e32 v6, vcc, v6, v10, vcc
	v_mul_lo_u32 v9, s0, v6
	v_mul_hi_u32 v10, s0, v4
	v_mul_lo_u32 v11, s1, v4
	v_mul_lo_u32 v12, s0, v4
	v_add_u32_e32 v9, v10, v9
	v_add_u32_e32 v9, v9, v11
	v_mul_lo_u32 v13, v4, v9
	v_mul_hi_u32 v14, v4, v12
	v_mul_hi_u32 v15, v4, v9
	;; [unrolled: 1-line block ×3, first 2 shown]
	v_mul_lo_u32 v12, v6, v12
	v_mul_hi_u32 v10, v6, v9
	v_add_co_u32_e32 v13, vcc, v14, v13
	v_addc_co_u32_e32 v14, vcc, 0, v15, vcc
	v_mul_lo_u32 v9, v6, v9
	v_add_co_u32_e32 v12, vcc, v13, v12
	v_addc_co_u32_e32 v11, vcc, v14, v11, vcc
	v_addc_co_u32_e32 v10, vcc, 0, v10, vcc
	v_add_co_u32_e32 v9, vcc, v11, v9
	v_addc_co_u32_e32 v10, vcc, 0, v10, vcc
	v_add_co_u32_e32 v4, vcc, v4, v9
	v_addc_co_u32_e32 v6, vcc, v6, v10, vcc
	v_mad_u64_u32 v[9:10], s[0:1], v7, v6, 0
	v_mul_hi_u32 v11, v7, v4
	v_add_co_u32_e32 v13, vcc, v11, v9
	v_addc_co_u32_e32 v14, vcc, 0, v10, vcc
	v_mad_u64_u32 v[9:10], s[0:1], v8, v4, 0
	v_mad_u64_u32 v[11:12], s[0:1], v8, v6, 0
	v_add_co_u32_e32 v4, vcc, v13, v9
	v_addc_co_u32_e32 v4, vcc, v14, v10, vcc
	v_addc_co_u32_e32 v6, vcc, 0, v12, vcc
	v_add_co_u32_e32 v4, vcc, v4, v11
	v_addc_co_u32_e32 v6, vcc, 0, v6, vcc
	v_mul_lo_u32 v11, s25, v4
	v_mul_lo_u32 v12, s24, v6
	v_mad_u64_u32 v[9:10], s[0:1], s24, v4, 0
	v_add3_u32 v10, v10, v12, v11
	v_sub_u32_e32 v11, v8, v10
	v_mov_b32_e32 v12, s25
	v_sub_co_u32_e32 v9, vcc, v7, v9
	v_subb_co_u32_e64 v11, s[0:1], v11, v12, vcc
	v_subrev_co_u32_e64 v12, s[0:1], s24, v9
	v_subbrev_co_u32_e64 v11, s[0:1], 0, v11, s[0:1]
	v_cmp_le_u32_e64 s[0:1], s25, v11
	v_cndmask_b32_e64 v13, 0, -1, s[0:1]
	v_cmp_le_u32_e64 s[0:1], s24, v12
	v_cndmask_b32_e64 v12, 0, -1, s[0:1]
	v_cmp_eq_u32_e64 s[0:1], s25, v11
	v_cndmask_b32_e64 v11, v13, v12, s[0:1]
	v_add_co_u32_e64 v12, s[0:1], 2, v4
	v_addc_co_u32_e64 v13, s[0:1], 0, v6, s[0:1]
	v_add_co_u32_e64 v14, s[0:1], 1, v4
	v_addc_co_u32_e64 v15, s[0:1], 0, v6, s[0:1]
	v_subb_co_u32_e32 v10, vcc, v8, v10, vcc
	v_cmp_ne_u32_e64 s[0:1], 0, v11
	v_cmp_le_u32_e32 vcc, s25, v10
	v_cndmask_b32_e64 v11, v15, v13, s[0:1]
	v_cndmask_b32_e64 v13, 0, -1, vcc
	v_cmp_le_u32_e32 vcc, s24, v9
	v_cndmask_b32_e64 v9, 0, -1, vcc
	v_cmp_eq_u32_e32 vcc, s25, v10
	v_cndmask_b32_e32 v9, v13, v9, vcc
	v_cmp_ne_u32_e32 vcc, 0, v9
	v_cndmask_b32_e32 v37, v6, v11, vcc
	v_cndmask_b32_e64 v6, v14, v12, s[0:1]
	v_cndmask_b32_e32 v36, v4, v6, vcc
.LBB0_4:                                ;   in Loop: Header=BB0_2 Depth=1
	s_andn2_saveexec_b64 s[0:1], s[26:27]
	s_cbranch_execz .LBB0_6
; %bb.5:                                ;   in Loop: Header=BB0_2 Depth=1
	v_cvt_f32_u32_e32 v4, s24
	s_sub_i32 s26, 0, s24
	v_mov_b32_e32 v37, v5
	v_rcp_iflag_f32_e32 v4, v4
	v_mul_f32_e32 v4, 0x4f7ffffe, v4
	v_cvt_u32_f32_e32 v4, v4
	v_mul_lo_u32 v6, s26, v4
	v_mul_hi_u32 v6, v4, v6
	v_add_u32_e32 v4, v4, v6
	v_mul_hi_u32 v4, v7, v4
	v_mul_lo_u32 v6, v4, s24
	v_add_u32_e32 v9, 1, v4
	v_sub_u32_e32 v6, v7, v6
	v_subrev_u32_e32 v10, s24, v6
	v_cmp_le_u32_e32 vcc, s24, v6
	v_cndmask_b32_e32 v6, v6, v10, vcc
	v_cndmask_b32_e32 v4, v4, v9, vcc
	v_add_u32_e32 v9, 1, v4
	v_cmp_le_u32_e32 vcc, s24, v6
	v_cndmask_b32_e32 v36, v4, v9, vcc
.LBB0_6:                                ;   in Loop: Header=BB0_2 Depth=1
	s_or_b64 exec, exec, s[0:1]
	v_mul_lo_u32 v4, v37, s24
	v_mul_lo_u32 v6, v36, s25
	v_mad_u64_u32 v[9:10], s[0:1], v36, s24, 0
	s_load_dwordx2 s[0:1], s[6:7], 0x0
	s_load_dwordx2 s[24:25], s[2:3], 0x0
	v_add3_u32 v4, v10, v6, v4
	v_sub_co_u32_e32 v6, vcc, v7, v9
	v_subb_co_u32_e32 v4, vcc, v8, v4, vcc
	s_waitcnt lgkmcnt(0)
	v_mul_lo_u32 v7, s0, v4
	v_mul_lo_u32 v8, s1, v6
	v_mad_u64_u32 v[1:2], s[0:1], s0, v6, v[1:2]
	s_add_u32 s22, s22, 1
	s_addc_u32 s23, s23, 0
	s_add_u32 s2, s2, 8
	v_mul_lo_u32 v4, s24, v4
	v_mul_lo_u32 v9, s25, v6
	v_mad_u64_u32 v[32:33], s[0:1], s24, v6, v[32:33]
	v_add3_u32 v2, v8, v2, v7
	s_addc_u32 s3, s3, 0
	v_mov_b32_e32 v6, s14
	s_add_u32 s6, s6, 8
	v_mov_b32_e32 v7, s15
	s_addc_u32 s7, s7, 0
	v_cmp_ge_u64_e32 vcc, s[22:23], v[6:7]
	s_add_u32 s20, s20, 8
	v_add3_u32 v33, v9, v33, v4
	s_addc_u32 s21, s21, 0
	s_cbranch_vccnz .LBB0_8
; %bb.7:                                ;   in Loop: Header=BB0_2 Depth=1
	v_mov_b32_e32 v7, v36
	v_mov_b32_e32 v8, v37
	s_branch .LBB0_2
.LBB0_8:
	s_mov_b32 s2, 0xaaaaaaab
	s_load_dwordx2 s[0:1], s[4:5], 0x28
	v_mul_hi_u32 v4, v3, s2
	s_lshl_b64 s[6:7], s[14:15], 3
	s_add_u32 s2, s18, s6
	s_addc_u32 s3, s19, s7
	v_lshrrev_b32_e32 v4, 1, v4
	v_lshl_add_u32 v4, v4, 1, v4
	s_waitcnt lgkmcnt(0)
	v_cmp_gt_u64_e32 vcc, s[0:1], v[36:37]
	v_cmp_le_u64_e64 s[0:1], s[0:1], v[36:37]
	v_sub_u32_e32 v3, v3, v4
                                        ; implicit-def: $vgpr34
	s_and_saveexec_b64 s[4:5], s[0:1]
	s_xor_b64 s[0:1], exec, s[4:5]
; %bb.9:
	s_mov_b32 s4, 0x7878788
	v_mul_hi_u32 v1, v0, s4
	v_mul_u32_u24_e32 v1, 34, v1
	v_sub_u32_e32 v34, v0, v1
                                        ; implicit-def: $vgpr0
                                        ; implicit-def: $vgpr1_vgpr2
; %bb.10:
	s_or_saveexec_b64 s[4:5], s[0:1]
	v_mul_u32_u24_e32 v3, 0x221, v3
	v_lshlrev_b32_e32 v44, 3, v3
	s_xor_b64 exec, exec, s[4:5]
	s_cbranch_execz .LBB0_12
; %bb.11:
	s_add_u32 s0, s16, s6
	s_addc_u32 s1, s17, s7
	s_load_dwordx2 s[0:1], s[0:1], 0x0
	s_mov_b32 s6, 0x7878788
	v_mul_hi_u32 v5, v0, s6
	s_waitcnt lgkmcnt(0)
	v_mul_lo_u32 v6, s1, v36
	v_mul_lo_u32 v7, s0, v37
	v_mad_u64_u32 v[3:4], s[0:1], s0, v36, 0
	v_mul_u32_u24_e32 v5, 34, v5
	v_sub_u32_e32 v34, v0, v5
	v_add3_u32 v4, v4, v7, v6
	v_lshlrev_b64 v[3:4], 3, v[3:4]
	v_mov_b32_e32 v0, s9
	v_add_co_u32_e64 v3, s[0:1], s8, v3
	v_addc_co_u32_e64 v4, s[0:1], v0, v4, s[0:1]
	v_lshlrev_b64 v[0:1], 3, v[1:2]
	v_lshlrev_b32_e32 v35, 3, v34
	v_add_co_u32_e64 v0, s[0:1], v3, v0
	v_addc_co_u32_e64 v1, s[0:1], v4, v1, s[0:1]
	v_add_co_u32_e64 v0, s[0:1], v0, v35
	v_addc_co_u32_e64 v1, s[0:1], 0, v1, s[0:1]
	global_load_dwordx2 v[2:3], v[0:1], off
	global_load_dwordx2 v[4:5], v[0:1], off offset:272
	global_load_dwordx2 v[6:7], v[0:1], off offset:544
	;; [unrolled: 1-line block ×14, first 2 shown]
	s_nop 0
	global_load_dwordx2 v[0:1], v[0:1], off offset:4080
	v_add3_u32 v35, 0, v44, v35
	v_add_u32_e32 v38, 0x800, v35
	s_waitcnt vmcnt(14)
	ds_write2_b64 v35, v[2:3], v[4:5] offset1:34
	s_waitcnt vmcnt(12)
	ds_write2_b64 v35, v[6:7], v[8:9] offset0:68 offset1:102
	s_waitcnt vmcnt(10)
	ds_write2_b64 v35, v[10:11], v[12:13] offset0:136 offset1:170
	;; [unrolled: 2-line block ×7, first 2 shown]
.LBB0_12:
	s_or_b64 exec, exec, s[4:5]
	v_lshlrev_b32_e32 v35, 3, v34
	v_add_u32_e32 v40, 0, v44
	v_add3_u32 v43, 0, v35, v44
	v_add_u32_e32 v41, v40, v35
	v_add_u32_e32 v45, 0x400, v43
	;; [unrolled: 1-line block ×3, first 2 shown]
	s_waitcnt lgkmcnt(0)
	s_barrier
	ds_read_b64 v[38:39], v41
	ds_read2_b64 v[0:3], v43 offset0:32 offset1:64
	ds_read2_b64 v[4:7], v43 offset0:96 offset1:128
	;; [unrolled: 1-line block ×4, first 2 shown]
	v_add_u32_e32 v42, 0x800, v43
	ds_read2_b64 v[8:11], v8 offset0:96 offset1:128
	ds_read2_b64 v[28:31], v42 offset0:32 offset1:64
	;; [unrolled: 1-line block ×4, first 2 shown]
	v_cmp_gt_u32_e64 s[0:1], 32, v34
	s_waitcnt lgkmcnt(0)
	s_barrier
	s_and_saveexec_b64 s[4:5], s[0:1]
	s_cbranch_execz .LBB0_14
; %bb.13:
	v_add_f32_e32 v51, v39, v1
	v_add_f32_e32 v51, v51, v3
	;; [unrolled: 1-line block ×14, first 2 shown]
	v_sub_f32_e32 v50, v24, v30
	v_add_f32_e32 v48, v30, v24
	v_add_f32_e32 v24, v51, v24
	;; [unrolled: 1-line block ×4, first 2 shown]
	v_sub_f32_e32 v52, v25, v31
	v_add_f32_e32 v25, v53, v29
	v_add_f32_e32 v53, v25, v31
	;; [unrolled: 1-line block ×4, first 2 shown]
	v_sub_f32_e32 v49, v26, v28
	v_add_f32_e32 v24, v28, v26
	v_sub_f32_e32 v51, v27, v29
	v_add_f32_e32 v26, v23, v13
	v_add_f32_e32 v54, v25, v30
	v_sub_f32_e32 v29, v13, v23
	v_add_f32_e32 v13, v53, v21
	v_add_f32_e32 v53, v13, v23
	;; [unrolled: 1-line block ×3, first 2 shown]
	v_sub_f32_e32 v31, v12, v22
	v_sub_f32_e32 v30, v14, v20
	v_add_f32_e32 v25, v22, v12
	v_add_f32_e32 v12, v20, v14
	;; [unrolled: 1-line block ×3, first 2 shown]
	v_sub_f32_e32 v55, v4, v18
	v_add_f32_e32 v14, v18, v4
	v_add_f32_e32 v4, v53, v17
	;; [unrolled: 1-line block ×3, first 2 shown]
	v_sub_f32_e32 v28, v15, v21
	v_add_f32_e32 v15, v19, v5
	v_sub_f32_e32 v23, v5, v19
	v_add_f32_e32 v4, v4, v19
	v_add_f32_e32 v5, v56, v16
	v_add_f32_e32 v5, v5, v18
	v_sub_f32_e32 v57, v0, v10
	v_add_f32_e32 v18, v10, v0
	v_add_f32_e32 v0, v4, v9
	;; [unrolled: 4-line block ×4, first 2 shown]
	v_mul_f32_e32 v10, 0x3ee437d1, v21
	v_sub_f32_e32 v54, v6, v16
	v_add_f32_e32 v13, v16, v6
	v_sub_f32_e32 v56, v2, v8
	v_add_f32_e32 v16, v8, v2
	v_mov_b32_e32 v2, v10
	v_mul_f32_e32 v11, 0xbf1a4643, v17
	v_sub_f32_e32 v19, v3, v9
	v_fmac_f32_e32 v2, 0x3f65296c, v57
	v_mov_b32_e32 v3, v11
	v_add_f32_e32 v2, v39, v2
	v_fmac_f32_e32 v3, 0x3f4c4adb, v56
	v_mul_f32_e32 v58, 0xbf7ba420, v15
	v_add_f32_e32 v2, v3, v2
	v_mov_b32_e32 v3, v58
	v_fmac_f32_e32 v3, 0xbe3c28d5, v55
	v_mul_f32_e32 v59, 0xbe8c1d8e, v20
	v_add_f32_e32 v2, v3, v2
	v_mov_b32_e32 v3, v59
	v_fmac_f32_e32 v3, 0xbf763a35, v54
	v_mul_f32_e32 v60, 0x3f3d2fb0, v26
	v_add_f32_e32 v2, v3, v2
	v_mov_b32_e32 v3, v60
	v_fmac_f32_e32 v3, 0xbf2c7751, v31
	v_mul_f32_e32 v61, 0x3f6eb680, v27
	v_add_f32_e32 v2, v3, v2
	v_mov_b32_e32 v3, v61
	v_fmac_f32_e32 v3, 0x3eb8f4ab, v30
	v_mul_f32_e32 v62, 0x3dbcf732, v46
	v_add_f32_e32 v2, v3, v2
	v_mov_b32_e32 v3, v62
	v_fmac_f32_e32 v3, 0x3f7ee86f, v50
	v_mul_f32_e32 v63, 0xbf65296c, v53
	v_add_f32_e32 v2, v3, v2
	v_mov_b32_e32 v3, v63
	v_mul_f32_e32 v64, 0xbf4c4adb, v19
	v_fmac_f32_e32 v3, 0x3ee437d1, v18
	v_mov_b32_e32 v4, v64
	v_add_f32_e32 v3, v38, v3
	v_fmac_f32_e32 v4, 0xbf1a4643, v16
	v_mul_f32_e32 v65, 0x3e3c28d5, v23
	v_add_f32_e32 v3, v4, v3
	v_mov_b32_e32 v4, v65
	v_fmac_f32_e32 v4, 0xbf7ba420, v14
	v_mul_f32_e32 v66, 0x3f763a35, v22
	v_add_f32_e32 v3, v4, v3
	v_mov_b32_e32 v4, v66
	v_fmac_f32_e32 v4, 0xbe8c1d8e, v13
	v_mul_f32_e32 v67, 0x3f2c7751, v29
	v_add_f32_e32 v3, v4, v3
	v_mov_b32_e32 v4, v67
	v_fmac_f32_e32 v4, 0x3f3d2fb0, v25
	v_mul_f32_e32 v68, 0xbeb8f4ab, v28
	v_add_f32_e32 v3, v4, v3
	v_mov_b32_e32 v4, v68
	v_fmac_f32_e32 v4, 0x3f6eb680, v12
	v_mul_f32_e32 v69, 0xbf7ee86f, v52
	v_add_f32_e32 v3, v4, v3
	v_mov_b32_e32 v4, v69
	v_fmac_f32_e32 v4, 0x3dbcf732, v48
	v_mul_f32_e32 v70, 0xbf59a7d5, v47
	v_add_f32_e32 v4, v4, v3
	v_mov_b32_e32 v3, v70
	v_fmac_f32_e32 v3, 0x3f06c442, v49
	v_mul_f32_e32 v71, 0xbf06c442, v51
	v_add_f32_e32 v3, v3, v2
	v_mov_b32_e32 v2, v71
	v_fmac_f32_e32 v2, 0xbf59a7d5, v24
	v_mul_f32_e32 v84, 0x3dbcf732, v21
	v_add_f32_e32 v2, v2, v4
	v_mov_b32_e32 v4, v84
	v_mul_f32_e32 v85, 0xbf7ba420, v17
	v_fmac_f32_e32 v4, 0x3f7ee86f, v57
	v_mov_b32_e32 v5, v85
	v_add_f32_e32 v4, v39, v4
	v_fmac_f32_e32 v5, 0x3e3c28d5, v56
	v_mul_f32_e32 v86, 0xbe8c1d8e, v15
	v_add_f32_e32 v4, v5, v4
	v_mov_b32_e32 v5, v86
	v_fmac_f32_e32 v5, 0xbf763a35, v55
	v_mul_f32_e32 v87, 0x3f6eb680, v20
	v_add_f32_e32 v4, v5, v4
	v_mov_b32_e32 v5, v87
	v_fmac_f32_e32 v5, 0xbeb8f4ab, v54
	v_mul_f32_e32 v88, 0x3ee437d1, v26
	v_add_f32_e32 v4, v5, v4
	v_mov_b32_e32 v5, v88
	v_fmac_f32_e32 v5, 0x3f65296c, v31
	v_mul_f32_e32 v89, 0xbf59a7d5, v27
	v_add_f32_e32 v4, v5, v4
	v_mov_b32_e32 v5, v89
	v_fmac_f32_e32 v5, 0x3f06c442, v30
	v_mul_f32_e32 v90, 0xbf1a4643, v46
	v_add_f32_e32 v4, v5, v4
	v_mov_b32_e32 v5, v90
	v_fmac_f32_e32 v5, 0xbf4c4adb, v50
	v_mul_f32_e32 v91, 0xbf7ee86f, v53
	v_add_f32_e32 v4, v5, v4
	v_mov_b32_e32 v5, v91
	v_mul_f32_e32 v92, 0xbe3c28d5, v19
	v_fmac_f32_e32 v5, 0x3dbcf732, v18
	v_mov_b32_e32 v6, v92
	v_add_f32_e32 v5, v38, v5
	v_fmac_f32_e32 v6, 0xbf7ba420, v16
	v_mul_f32_e32 v93, 0x3f763a35, v23
	v_add_f32_e32 v5, v6, v5
	v_mov_b32_e32 v6, v93
	v_fmac_f32_e32 v6, 0xbe8c1d8e, v14
	v_mul_f32_e32 v94, 0x3eb8f4ab, v22
	v_add_f32_e32 v5, v6, v5
	v_mov_b32_e32 v6, v94
	v_fmac_f32_e32 v6, 0x3f6eb680, v13
	v_mul_f32_e32 v95, 0xbf65296c, v29
	v_add_f32_e32 v5, v6, v5
	v_mov_b32_e32 v6, v95
	v_fmac_f32_e32 v6, 0x3ee437d1, v25
	v_mul_f32_e32 v96, 0xbf06c442, v28
	v_add_f32_e32 v5, v6, v5
	v_mov_b32_e32 v6, v96
	v_fmac_f32_e32 v6, 0xbf59a7d5, v12
	v_mul_f32_e32 v97, 0x3f4c4adb, v52
	v_add_f32_e32 v5, v6, v5
	v_mov_b32_e32 v6, v97
	v_fmac_f32_e32 v6, 0xbf1a4643, v48
	v_mul_f32_e32 v98, 0x3f3d2fb0, v47
	v_add_f32_e32 v6, v6, v5
	v_mov_b32_e32 v5, v98
	v_fmac_f32_e32 v5, 0xbf2c7751, v49
	v_mul_f32_e32 v99, 0x3f2c7751, v51
	v_add_f32_e32 v5, v5, v4
	v_mov_b32_e32 v4, v99
	v_fmac_f32_e32 v4, 0x3f3d2fb0, v24
	v_mul_f32_e32 v82, 0xbe8c1d8e, v21
	v_add_f32_e32 v4, v4, v6
	v_mov_b32_e32 v6, v82
	v_mul_f32_e32 v83, 0xbf59a7d5, v17
	;; [unrolled: 64-line block ×4, first 2 shown]
	v_fmac_f32_e32 v10, 0xbf65296c, v57
	v_fmac_f32_e32 v72, 0x3f06c442, v57
	v_mov_b32_e32 v73, v79
	s_mov_b32 s9, 0x3ee437d1
	v_add_f32_e32 v10, v39, v10
	v_fmac_f32_e32 v11, 0xbf4c4adb, v56
	v_add_f32_e32 v72, v39, v72
	v_fmac_f32_e32 v73, 0xbf65296c, v56
	v_mul_f32_e32 v128, 0x3dbcf732, v15
	s_mov_b32 s6, 0xbf1a4643
	v_add_f32_e32 v10, v11, v10
	v_fmac_f32_e32 v58, 0x3e3c28d5, v55
	v_fma_f32 v11, v18, s9, -v63
	v_add_f32_e32 v72, v73, v72
	v_mov_b32_e32 v73, v128
	s_mov_b32 s0, 0xbf7ba420
	v_add_f32_e32 v10, v58, v10
	v_add_f32_e32 v11, v38, v11
	v_fma_f32 v58, v16, s6, -v64
	v_fmac_f32_e32 v73, 0x3f7ee86f, v55
	v_mul_f32_e32 v129, 0xbf1a4643, v20
	s_mov_b32 s8, 0xbe8c1d8e
	v_fmac_f32_e32 v59, 0x3f763a35, v54
	v_add_f32_e32 v11, v58, v11
	v_fma_f32 v58, v14, s0, -v65
	v_add_f32_e32 v72, v73, v72
	v_mov_b32_e32 v73, v129
	s_mov_b32 s7, 0x3f3d2fb0
	v_add_f32_e32 v10, v59, v10
	v_fmac_f32_e32 v60, 0x3f2c7751, v31
	v_add_f32_e32 v11, v58, v11
	v_fma_f32 v58, v13, s8, -v66
	v_fmac_f32_e32 v73, 0xbf4c4adb, v54
	v_mul_f32_e32 v130, 0x3f6eb680, v26
	s_mov_b32 s15, 0x3f6eb680
	v_add_f32_e32 v10, v60, v10
	v_fmac_f32_e32 v61, 0xbeb8f4ab, v30
	v_add_f32_e32 v11, v58, v11
	v_fma_f32 v58, v25, s7, -v67
	v_add_f32_e32 v72, v73, v72
	v_mov_b32_e32 v73, v130
	s_mov_b32 s14, 0x3dbcf732
	v_add_f32_e32 v10, v61, v10
	v_fmac_f32_e32 v62, 0xbf7ee86f, v50
	v_add_f32_e32 v11, v58, v11
	v_fma_f32 v58, v12, s15, -v68
	v_fmac_f32_e32 v73, 0x3eb8f4ab, v31
	v_mul_f32_e32 v131, 0xbf7ba420, v27
	s_mov_b32 s1, 0xbf59a7d5
	v_add_f32_e32 v10, v62, v10
	v_add_f32_e32 v11, v58, v11
	v_fma_f32 v58, v48, s14, -v69
	v_fmac_f32_e32 v70, 0xbf06c442, v49
	v_add_f32_e32 v72, v73, v72
	v_mov_b32_e32 v73, v131
	v_add_f32_e32 v58, v58, v11
	v_add_f32_e32 v11, v70, v10
	v_fma_f32 v10, v24, s1, -v71
	v_mul_f32_e32 v60, 0xbf2c7751, v57
	v_fmac_f32_e32 v73, 0x3e3c28d5, v30
	v_mul_f32_e32 v132, 0x3f3d2fb0, v46
	v_add_f32_e32 v10, v10, v58
	v_mov_b32_e32 v58, v60
	v_mul_f32_e32 v61, 0xbf7ee86f, v56
	v_add_f32_e32 v72, v73, v72
	v_mov_b32_e32 v73, v132
	v_fmac_f32_e32 v58, 0x3f3d2fb0, v21
	v_mov_b32_e32 v59, v61
	v_fmac_f32_e32 v73, 0xbf2c7751, v50
	v_mul_f32_e32 v133, 0xbf06c442, v53
	v_add_f32_e32 v58, v39, v58
	v_fmac_f32_e32 v59, 0x3dbcf732, v17
	v_mul_f32_e32 v62, 0xbf4c4adb, v55
	v_add_f32_e32 v72, v73, v72
	v_mov_b32_e32 v73, v133
	v_mul_f32_e32 v134, 0x3f65296c, v19
	v_add_f32_e32 v58, v59, v58
	v_mov_b32_e32 v59, v62
	v_fmac_f32_e32 v73, 0xbf59a7d5, v18
	v_mov_b32_e32 v74, v134
	v_fmac_f32_e32 v59, 0xbf1a4643, v15
	v_mul_f32_e32 v63, 0xbe3c28d5, v54
	v_add_f32_e32 v73, v38, v73
	v_fmac_f32_e32 v74, 0x3ee437d1, v16
	v_mul_f32_e32 v135, 0xbf7ee86f, v23
	v_add_f32_e32 v58, v59, v58
	v_mov_b32_e32 v59, v63
	v_add_f32_e32 v73, v74, v73
	v_mov_b32_e32 v74, v135
	v_fmac_f32_e32 v59, 0xbf7ba420, v20
	v_mul_f32_e32 v64, 0x3f06c442, v31
	v_fmac_f32_e32 v74, 0x3dbcf732, v14
	v_mul_f32_e32 v136, 0x3f4c4adb, v22
	v_add_f32_e32 v58, v59, v58
	v_mov_b32_e32 v59, v64
	v_add_f32_e32 v73, v74, v73
	v_mov_b32_e32 v74, v136
	v_fmac_f32_e32 v59, 0xbf59a7d5, v26
	v_mul_f32_e32 v65, 0x3f763a35, v30
	v_fmac_f32_e32 v74, 0xbf1a4643, v13
	v_mul_f32_e32 v137, 0xbeb8f4ab, v29
	v_add_f32_e32 v58, v59, v58
	v_mov_b32_e32 v59, v65
	v_add_f32_e32 v73, v74, v73
	v_mov_b32_e32 v74, v137
	v_fmac_f32_e32 v84, 0xbf7ee86f, v57
	v_fmac_f32_e32 v59, 0xbe8c1d8e, v27
	v_mul_f32_e32 v66, 0x3f65296c, v50
	v_fmac_f32_e32 v74, 0x3f6eb680, v25
	v_mul_f32_e32 v138, 0xbe3c28d5, v28
	v_add_f32_e32 v84, v39, v84
	v_fmac_f32_e32 v85, 0xbe3c28d5, v56
	v_add_f32_e32 v58, v59, v58
	v_mov_b32_e32 v59, v66
	v_add_f32_e32 v73, v74, v73
	v_mov_b32_e32 v74, v138
	v_add_f32_e32 v84, v85, v84
	v_fmac_f32_e32 v86, 0x3f763a35, v55
	v_fma_f32 v85, v18, s14, -v91
	v_fmac_f32_e32 v59, 0x3ee437d1, v46
	v_mul_f32_e32 v67, 0xbf2c7751, v53
	v_fmac_f32_e32 v74, 0xbf7ba420, v12
	v_mul_f32_e32 v139, 0x3f2c7751, v52
	v_add_f32_e32 v84, v86, v84
	v_add_f32_e32 v85, v38, v85
	v_fma_f32 v86, v16, s0, -v92
	v_add_f32_e32 v58, v59, v58
	v_fma_f32 v59, v18, s7, -v67
	v_mul_f32_e32 v68, 0xbf7ee86f, v19
	v_add_f32_e32 v73, v74, v73
	v_mov_b32_e32 v74, v139
	v_fmac_f32_e32 v87, 0x3eb8f4ab, v54
	v_add_f32_e32 v85, v86, v85
	v_fma_f32 v86, v14, s8, -v93
	v_add_f32_e32 v59, v38, v59
	v_fma_f32 v69, v16, s14, -v68
	v_fmac_f32_e32 v74, 0x3f3d2fb0, v48
	v_mul_f32_e32 v140, 0xbe8c1d8e, v47
	v_add_f32_e32 v84, v87, v84
	v_fmac_f32_e32 v88, 0xbf65296c, v31
	v_add_f32_e32 v85, v86, v85
	v_fma_f32 v86, v13, s15, -v94
	v_add_f32_e32 v59, v69, v59
	v_mul_f32_e32 v69, 0xbf4c4adb, v23
	v_add_f32_e32 v74, v74, v73
	v_mov_b32_e32 v73, v140
	v_add_f32_e32 v84, v88, v84
	v_fmac_f32_e32 v89, 0xbf06c442, v30
	v_add_f32_e32 v85, v86, v85
	v_fma_f32 v86, v25, s9, -v95
	v_fma_f32 v70, v14, s6, -v69
	v_fmac_f32_e32 v73, 0x3f763a35, v49
	v_mul_f32_e32 v141, 0xbf763a35, v51
	v_add_f32_e32 v84, v89, v84
	v_fmac_f32_e32 v90, 0x3f4c4adb, v50
	v_add_f32_e32 v85, v86, v85
	v_fma_f32 v86, v12, s1, -v96
	v_add_f32_e32 v59, v70, v59
	v_mul_f32_e32 v70, 0xbe3c28d5, v22
	v_add_f32_e32 v73, v73, v72
	v_mov_b32_e32 v72, v141
	v_add_f32_e32 v84, v90, v84
	v_add_f32_e32 v85, v86, v85
	v_fma_f32 v86, v48, s6, -v97
	v_fmac_f32_e32 v98, 0x3f2c7751, v49
	v_fma_f32 v71, v13, s0, -v70
	v_fmac_f32_e32 v72, 0xbe8c1d8e, v24
	v_mul_f32_e32 v76, 0xbf7ba420, v21
	v_add_f32_e32 v86, v86, v85
	v_add_f32_e32 v85, v98, v84
	v_fma_f32 v84, v24, s7, -v99
	v_add_f32_e32 v59, v71, v59
	v_mul_f32_e32 v71, 0x3f06c442, v29
	v_add_f32_e32 v72, v72, v74
	v_mov_b32_e32 v74, v76
	v_mul_f32_e32 v77, 0x3f6eb680, v17
	v_add_f32_e32 v84, v84, v86
	v_fma_f32 v86, v25, s1, -v71
	v_fmac_f32_e32 v74, 0x3e3c28d5, v57
	v_mov_b32_e32 v75, v77
	v_add_f32_e32 v59, v86, v59
	v_mul_f32_e32 v86, 0x3f763a35, v28
	v_add_f32_e32 v74, v39, v74
	v_fmac_f32_e32 v75, 0xbeb8f4ab, v56
	v_mul_f32_e32 v142, 0xbf59a7d5, v15
	v_fma_f32 v87, v12, s8, -v86
	v_add_f32_e32 v74, v75, v74
	v_mov_b32_e32 v75, v142
	v_add_f32_e32 v59, v87, v59
	v_mul_f32_e32 v87, 0x3f65296c, v52
	v_fmac_f32_e32 v75, 0x3f06c442, v55
	v_mul_f32_e32 v143, 0x3f3d2fb0, v20
	v_fma_f32 v88, v48, s9, -v87
	v_mul_f32_e32 v89, 0x3eb8f4ab, v49
	v_add_f32_e32 v74, v75, v74
	v_mov_b32_e32 v75, v143
	v_add_f32_e32 v88, v88, v59
	v_mov_b32_e32 v59, v89
	v_fmac_f32_e32 v75, 0xbf2c7751, v54
	v_mul_f32_e32 v144, 0xbf1a4643, v26
	v_fmac_f32_e32 v59, 0x3f6eb680, v47
	v_mul_f32_e32 v90, 0x3eb8f4ab, v51
	v_add_f32_e32 v74, v75, v74
	v_mov_b32_e32 v75, v144
	v_fmac_f32_e32 v76, 0xbe3c28d5, v57
	v_fmac_f32_e32 v78, 0xbf06c442, v57
	v_fmac_f32_e32 v80, 0xbf4c4adb, v57
	v_fmac_f32_e32 v82, 0xbf763a35, v57
	v_add_f32_e32 v59, v59, v58
	v_fma_f32 v58, v24, s15, -v90
	v_mul_f32_e32 v57, 0xbeb8f4ab, v57
	v_fmac_f32_e32 v75, 0x3f4c4adb, v31
	v_mul_f32_e32 v145, 0x3ee437d1, v27
	v_fmac_f32_e32 v77, 0x3eb8f4ab, v56
	v_fmac_f32_e32 v79, 0x3f65296c, v56
	;; [unrolled: 1-line block ×4, first 2 shown]
	v_add_f32_e32 v58, v58, v88
	v_mov_b32_e32 v88, v57
	v_mul_f32_e32 v56, 0xbf2c7751, v56
	v_add_f32_e32 v74, v75, v74
	v_mov_b32_e32 v75, v145
	v_fmac_f32_e32 v88, 0x3f6eb680, v21
	v_mov_b32_e32 v91, v56
	v_fmac_f32_e32 v75, 0xbf65296c, v30
	v_mul_f32_e32 v146, 0xbe8c1d8e, v46
	v_fmac_f32_e32 v142, 0xbf06c442, v55
	v_fmac_f32_e32 v128, 0xbf7ee86f, v55
	;; [unrolled: 1-line block ×4, first 2 shown]
	v_add_f32_e32 v88, v39, v88
	v_fmac_f32_e32 v91, 0x3f3d2fb0, v17
	v_mul_f32_e32 v55, 0xbf65296c, v55
	v_add_f32_e32 v74, v75, v74
	v_mov_b32_e32 v75, v146
	v_add_f32_e32 v88, v91, v88
	v_mov_b32_e32 v91, v55
	v_fmac_f32_e32 v75, 0x3f763a35, v50
	v_mul_f32_e32 v147, 0xbe3c28d5, v53
	v_fmac_f32_e32 v143, 0x3f2c7751, v54
	v_fmac_f32_e32 v129, 0x3f4c4adb, v54
	;; [unrolled: 1-line block ×5, first 2 shown]
	v_mul_f32_e32 v54, 0xbf7ee86f, v54
	v_add_f32_e32 v74, v75, v74
	v_mov_b32_e32 v75, v147
	v_mul_f32_e32 v148, 0x3eb8f4ab, v19
	v_add_f32_e32 v88, v91, v88
	v_mov_b32_e32 v91, v54
	v_fmac_f32_e32 v75, 0xbf7ba420, v18
	v_mov_b32_e32 v149, v148
	v_fmac_f32_e32 v144, 0xbf4c4adb, v31
	v_fmac_f32_e32 v130, 0xbeb8f4ab, v31
	;; [unrolled: 1-line block ×5, first 2 shown]
	v_mul_f32_e32 v31, 0xbf763a35, v31
	v_add_f32_e32 v75, v38, v75
	v_fmac_f32_e32 v149, 0x3f6eb680, v16
	v_add_f32_e32 v88, v91, v88
	v_mov_b32_e32 v91, v31
	v_add_f32_e32 v75, v149, v75
	v_mul_f32_e32 v149, 0xbf06c442, v23
	v_fmac_f32_e32 v145, 0x3f65296c, v30
	v_fmac_f32_e32 v131, 0xbe3c28d5, v30
	v_fmac_f32_e32 v117, 0xbf2c7751, v30
	v_fmac_f32_e32 v103, 0x3f7ee86f, v30
	v_fmac_f32_e32 v91, 0xbe8c1d8e, v26
	v_mul_f32_e32 v30, 0xbf4c4adb, v30
	v_mov_b32_e32 v150, v149
	v_add_f32_e32 v88, v91, v88
	v_mov_b32_e32 v91, v30
	v_fmac_f32_e32 v150, 0xbf59a7d5, v14
	v_fmac_f32_e32 v146, 0xbf763a35, v50
	;; [unrolled: 1-line block ×6, first 2 shown]
	v_mul_f32_e32 v50, 0xbf06c442, v50
	v_add_f32_e32 v75, v150, v75
	v_mul_f32_e32 v150, 0x3f2c7751, v22
	v_add_f32_e32 v88, v91, v88
	v_mov_b32_e32 v91, v50
	v_mov_b32_e32 v151, v150
	v_fmac_f32_e32 v91, 0xbf59a7d5, v46
	v_mul_f32_e32 v53, 0xbeb8f4ab, v53
	v_fmac_f32_e32 v151, 0x3f3d2fb0, v13
	v_add_f32_e32 v88, v91, v88
	v_fma_f32 v91, v18, s15, -v53
	v_mul_f32_e32 v19, 0xbf2c7751, v19
	v_add_f32_e32 v75, v151, v75
	v_mul_f32_e32 v151, 0xbf4c4adb, v29
	v_add_f32_e32 v91, v38, v91
	v_fma_f32 v92, v16, s7, -v19
	v_mov_b32_e32 v152, v151
	v_add_f32_e32 v91, v92, v91
	v_mul_f32_e32 v92, 0xbf65296c, v23
	v_fmac_f32_e32 v152, 0xbf1a4643, v25
	v_fma_f32 v23, v14, s9, -v92
	v_add_f32_e32 v75, v152, v75
	v_mul_f32_e32 v152, 0x3f65296c, v28
	v_add_f32_e32 v23, v23, v91
	v_mul_f32_e32 v91, 0xbf7ee86f, v22
	v_mov_b32_e32 v153, v152
	v_fma_f32 v22, v13, s14, -v91
	v_mul_f32_e32 v93, 0xbf763a35, v29
	v_fmac_f32_e32 v153, 0x3ee437d1, v12
	v_add_f32_e32 v22, v22, v23
	v_fma_f32 v23, v25, s8, -v93
	v_mul_f32_e32 v94, 0xbf4c4adb, v28
	v_add_f32_e32 v75, v153, v75
	v_mul_f32_e32 v153, 0xbf763a35, v52
	v_add_f32_e32 v22, v23, v22
	v_fma_f32 v23, v12, s6, -v94
	v_mul_f32_e32 v52, 0xbf06c442, v52
	v_mul_f32_e32 v156, 0x3f7ee86f, v51
	v_add_f32_e32 v22, v23, v22
	v_fma_f32 v23, v48, s1, -v52
	v_mul_f32_e32 v51, 0xbe3c28d5, v51
	v_add_f32_e32 v22, v23, v22
	v_fma_f32 v28, v24, s0, -v51
	v_add_f32_e32 v22, v28, v22
	v_fma_f32 v28, v21, s7, -v60
	;; [unrolled: 2-line block ×6, first 2 shown]
	v_add_f32_e32 v76, v39, v76
	v_add_f32_e32 v78, v39, v78
	;; [unrolled: 1-line block ×5, first 2 shown]
	v_fma_f32 v29, v27, s8, -v65
	v_add_f32_e32 v76, v77, v76
	v_fma_f32 v77, v18, s0, -v147
	v_add_f32_e32 v78, v79, v78
	v_fma_f32 v79, v18, s1, -v133
	v_add_f32_e32 v80, v81, v80
	v_fma_f32 v81, v18, s6, -v119
	v_add_f32_e32 v82, v83, v82
	v_fma_f32 v83, v18, s8, -v105
	v_add_f32_e32 v28, v29, v28
	v_fma_f32 v29, v46, s9, -v66
	v_fmac_f32_e32 v67, 0x3f3d2fb0, v18
	v_fma_f32 v21, v21, s15, -v57
	v_fmac_f32_e32 v53, 0x3f6eb680, v18
	v_mov_b32_e32 v154, v153
	v_add_f32_e32 v76, v142, v76
	v_add_f32_e32 v77, v38, v77
	v_fma_f32 v142, v16, s15, -v148
	v_add_f32_e32 v78, v128, v78
	v_add_f32_e32 v79, v38, v79
	v_fma_f32 v128, v16, s9, -v134
	;; [unrolled: 3-line block ×4, first 2 shown]
	v_add_f32_e32 v28, v29, v28
	v_add_f32_e32 v29, v38, v67
	v_fmac_f32_e32 v68, 0x3dbcf732, v16
	v_add_f32_e32 v18, v39, v21
	v_add_f32_e32 v21, v38, v53
	v_fma_f32 v17, v17, s7, -v56
	v_fmac_f32_e32 v19, 0x3f3d2fb0, v16
	v_fmac_f32_e32 v154, 0xbe8c1d8e, v48
	v_mul_f32_e32 v155, 0x3dbcf732, v47
	v_add_f32_e32 v77, v142, v77
	v_fma_f32 v142, v14, s1, -v149
	v_add_f32_e32 v79, v128, v79
	v_fma_f32 v128, v14, s14, -v135
	;; [unrolled: 2-line block ×4, first 2 shown]
	v_add_f32_e32 v29, v68, v29
	v_fmac_f32_e32 v69, 0xbf1a4643, v14
	v_add_f32_e32 v17, v17, v18
	v_fma_f32 v15, v15, s9, -v55
	v_add_f32_e32 v16, v19, v21
	v_fmac_f32_e32 v92, 0x3ee437d1, v14
	v_add_f32_e32 v154, v154, v75
	v_mov_b32_e32 v75, v155
	v_add_f32_e32 v76, v143, v76
	v_add_f32_e32 v77, v142, v77
	v_fma_f32 v142, v13, s7, -v150
	v_add_f32_e32 v78, v129, v78
	v_add_f32_e32 v79, v128, v79
	v_fma_f32 v128, v13, s6, -v136
	;; [unrolled: 3-line block ×4, first 2 shown]
	v_add_f32_e32 v29, v69, v29
	v_fmac_f32_e32 v70, 0xbf7ba420, v13
	v_add_f32_e32 v15, v15, v17
	v_fma_f32 v17, v20, s14, -v54
	v_add_f32_e32 v14, v92, v16
	v_fmac_f32_e32 v91, 0x3dbcf732, v13
	v_fmac_f32_e32 v75, 0xbf7ee86f, v49
	v_add_f32_e32 v76, v144, v76
	v_add_f32_e32 v77, v142, v77
	v_fma_f32 v142, v25, s6, -v151
	v_fmac_f32_e32 v155, 0x3f7ee86f, v49
	v_add_f32_e32 v78, v130, v78
	v_add_f32_e32 v79, v128, v79
	v_fma_f32 v128, v25, s15, -v137
	;; [unrolled: 4-line block ×4, first 2 shown]
	v_fmac_f32_e32 v112, 0xbf4c4adb, v49
	v_mul_f32_e32 v49, 0xbe3c28d5, v49
	v_add_f32_e32 v29, v70, v29
	v_fmac_f32_e32 v71, 0xbf59a7d5, v25
	v_add_f32_e32 v15, v17, v15
	v_fma_f32 v17, v26, s8, -v31
	v_add_f32_e32 v13, v91, v14
	v_fmac_f32_e32 v93, 0xbe8c1d8e, v25
	v_add_f32_e32 v76, v145, v76
	v_add_f32_e32 v77, v142, v77
	v_fma_f32 v142, v12, s9, -v152
	v_add_f32_e32 v78, v131, v78
	v_add_f32_e32 v79, v128, v79
	v_fma_f32 v128, v12, s0, -v138
	;; [unrolled: 3-line block ×4, first 2 shown]
	v_mov_b32_e32 v23, v49
	v_add_f32_e32 v29, v71, v29
	v_fmac_f32_e32 v86, 0xbe8c1d8e, v12
	v_add_f32_e32 v15, v17, v15
	v_fma_f32 v17, v27, s6, -v30
	v_add_f32_e32 v14, v93, v13
	v_fmac_f32_e32 v94, 0xbf1a4643, v12
	v_add_f32_e32 v75, v75, v74
	v_mov_b32_e32 v74, v156
	v_add_f32_e32 v76, v146, v76
	v_add_f32_e32 v77, v142, v77
	v_fma_f32 v142, v48, s8, -v153
	v_add_f32_e32 v78, v132, v78
	v_add_f32_e32 v79, v128, v79
	v_fma_f32 v128, v48, s7, -v139
	;; [unrolled: 3-line block ×4, first 2 shown]
	v_fmac_f32_e32 v23, 0xbf7ba420, v47
	v_add_f32_e32 v29, v86, v29
	v_fmac_f32_e32 v87, 0x3ee437d1, v48
	v_add_f32_e32 v15, v17, v15
	v_fma_f32 v17, v46, s1, -v50
	v_add_f32_e32 v12, v94, v14
	v_fmac_f32_e32 v52, 0xbf59a7d5, v48
	v_mul_u32_u24_e32 v14, 0x88, v34
	v_fmac_f32_e32 v74, 0x3dbcf732, v24
	v_add_f32_e32 v142, v142, v77
	v_add_f32_e32 v77, v155, v76
	v_fma_f32 v76, v24, s14, -v156
	v_add_f32_e32 v128, v128, v79
	v_add_f32_e32 v79, v140, v78
	v_fma_f32 v78, v24, s8, -v141
	v_add_f32_e32 v114, v114, v81
	v_add_f32_e32 v81, v126, v80
	v_fma_f32 v80, v24, s9, -v127
	v_add_f32_e32 v100, v100, v83
	v_add_f32_e32 v83, v112, v82
	v_fma_f32 v82, v24, s6, -v113
	v_add_f32_e32 v23, v23, v88
	v_add_f32_e32 v60, v87, v29
	v_fma_f32 v29, v47, s15, -v89
	v_fmac_f32_e32 v90, 0x3f6eb680, v24
	v_add_f32_e32 v15, v17, v15
	v_fma_f32 v17, v47, s0, -v49
	v_add_f32_e32 v12, v52, v12
	v_fmac_f32_e32 v51, 0xbf7ba420, v24
	v_add3_u32 v14, 0, v14, v44
	v_add_f32_e32 v74, v74, v154
	v_add_f32_e32 v76, v76, v142
	;; [unrolled: 1-line block ×9, first 2 shown]
	ds_write2_b64 v14, v[0:1], v[22:23] offset1:1
	ds_write2_b64 v14, v[58:59], v[10:11] offset0:2 offset1:3
	ds_write2_b64 v14, v[84:85], v[82:83] offset0:4 offset1:5
	;; [unrolled: 1-line block ×7, first 2 shown]
	ds_write_b64 v14, v[12:13] offset:128
.LBB0_14:
	s_or_b64 exec, exec, s[4:5]
	v_subrev_u32_e32 v0, 17, v34
	v_cmp_gt_u32_e64 s[0:1], 17, v34
	v_cndmask_b32_e64 v0, v0, v34, s[0:1]
	v_mov_b32_e32 v1, 0
	v_lshlrev_b64 v[2:3], 3, v[0:1]
	v_mov_b32_e32 v5, s13
	v_add_co_u32_e64 v2, s[0:1], s12, v2
	v_addc_co_u32_e64 v3, s[0:1], v5, v3, s[0:1]
	v_add_u16_e32 v5, 34, v34
	s_movk_i32 s0, 0xf1
	v_mul_lo_u16_sdwa v6, v5, s0 dst_sel:DWORD dst_unused:UNUSED_PAD src0_sel:BYTE_0 src1_sel:DWORD
	v_lshrrev_b16_e32 v62, 12, v6
	v_mul_lo_u16_e32 v6, 17, v62
	v_sub_u16_e32 v5, v5, v6
	v_mov_b32_e32 v6, 3
	v_lshlrev_b32_sdwa v63, v6, v5 dst_sel:DWORD dst_unused:UNUSED_PAD src0_sel:DWORD src1_sel:BYTE_0
	v_add_u16_e32 v5, 0x44, v34
	v_mul_lo_u16_sdwa v7, v5, s0 dst_sel:DWORD dst_unused:UNUSED_PAD src0_sel:BYTE_0 src1_sel:DWORD
	v_lshrrev_b16_e32 v64, 12, v7
	v_mul_lo_u16_e32 v7, 17, v64
	v_sub_u16_e32 v5, v5, v7
	v_lshlrev_b32_sdwa v65, v6, v5 dst_sel:DWORD dst_unused:UNUSED_PAD src0_sel:DWORD src1_sel:BYTE_0
	v_add_u16_e32 v5, 0x66, v34
	v_mul_lo_u16_sdwa v7, v5, s0 dst_sel:DWORD dst_unused:UNUSED_PAD src0_sel:BYTE_0 src1_sel:DWORD
	v_lshrrev_b16_e32 v66, 12, v7
	v_mul_lo_u16_e32 v7, 17, v66
	v_sub_u16_e32 v5, v5, v7
	s_load_dwordx2 s[2:3], s[2:3], 0x0
	s_waitcnt lgkmcnt(0)
	s_barrier
	v_lshlrev_b32_sdwa v67, v6, v5 dst_sel:DWORD dst_unused:UNUSED_PAD src0_sel:DWORD src1_sel:BYTE_0
	global_load_dwordx2 v[30:31], v[2:3], off
	global_load_dwordx2 v[38:39], v63, s[12:13]
	global_load_dwordx2 v[46:47], v65, s[12:13]
	;; [unrolled: 1-line block ×3, first 2 shown]
	v_add_u16_e32 v2, 0x88, v34
	v_mul_lo_u16_sdwa v3, v2, s0 dst_sel:DWORD dst_unused:UNUSED_PAD src0_sel:BYTE_0 src1_sel:DWORD
	v_lshrrev_b16_e32 v68, 12, v3
	v_mul_lo_u16_e32 v3, 17, v68
	v_sub_u16_e32 v2, v2, v3
	v_lshlrev_b32_sdwa v69, v6, v2 dst_sel:DWORD dst_unused:UNUSED_PAD src0_sel:DWORD src1_sel:BYTE_0
	v_add_u16_e32 v2, 0xaa, v34
	v_mul_lo_u16_sdwa v3, v2, s0 dst_sel:DWORD dst_unused:UNUSED_PAD src0_sel:BYTE_0 src1_sel:DWORD
	v_lshrrev_b16_e32 v70, 12, v3
	v_mul_lo_u16_e32 v3, 17, v70
	v_sub_u16_e32 v2, v2, v3
	v_lshlrev_b32_sdwa v71, v6, v2 dst_sel:DWORD dst_unused:UNUSED_PAD src0_sel:DWORD src1_sel:BYTE_0
	v_add_u16_e32 v2, 0xcc, v34
	v_mul_lo_u16_sdwa v3, v2, s0 dst_sel:DWORD dst_unused:UNUSED_PAD src0_sel:BYTE_0 src1_sel:DWORD
	v_lshrrev_b16_e32 v72, 12, v3
	v_mul_lo_u16_e32 v3, 17, v72
	v_add_u32_e32 v4, 0xee, v34
	v_sub_u16_e32 v2, v2, v3
	s_mov_b32 s0, 0xf0f1
	v_lshlrev_b32_sdwa v73, v6, v2 dst_sel:DWORD dst_unused:UNUSED_PAD src0_sel:DWORD src1_sel:BYTE_0
	v_mul_u32_u24_sdwa v2, v4, s0 dst_sel:DWORD dst_unused:UNUSED_PAD src0_sel:WORD_0 src1_sel:DWORD
	v_lshrrev_b32_e32 v74, 20, v2
	global_load_dwordx2 v[50:51], v69, s[12:13]
	global_load_dwordx2 v[52:53], v71, s[12:13]
	;; [unrolled: 1-line block ×3, first 2 shown]
	v_mul_lo_u16_e32 v2, 17, v74
	v_sub_u16_e32 v2, v4, v2
	v_lshlrev_b32_e32 v75, 3, v2
	global_load_dwordx2 v[56:57], v75, s[12:13]
	ds_read2_b64 v[2:5], v45 offset0:110 offset1:144
	ds_read2_b64 v[6:9], v43 offset0:34 offset1:68
	ds_read2_b64 v[10:13], v42 offset0:50 offset1:84
	ds_read2_b64 v[14:17], v43 offset0:102 offset1:136
	ds_read2_b64 v[18:21], v42 offset0:118 offset1:152
	ds_read2_b64 v[22:25], v43 offset0:170 offset1:204
	ds_read2_b64 v[26:29], v42 offset0:186 offset1:220
	ds_read_b64 v[58:59], v41
	ds_read_b64 v[60:61], v43 offset:4080
	v_cmp_lt_u32_e64 s[0:1], 16, v34
	v_lshlrev_b32_e32 v0, 3, v0
	s_movk_i32 s4, 0x110
	s_waitcnt vmcnt(0) lgkmcnt(0)
	s_barrier
	s_add_u32 s6, s12, 0x1078
	s_addc_u32 s7, s13, 0
	v_mul_f32_e32 v76, v31, v5
	v_mul_f32_e32 v31, v31, v4
	v_fmac_f32_e32 v31, v30, v5
	v_mul_f32_e32 v5, v39, v11
	v_fma_f32 v4, v30, v4, -v76
	v_mul_f32_e32 v30, v39, v10
	v_mul_f32_e32 v39, v47, v13
	;; [unrolled: 1-line block ×3, first 2 shown]
	v_fma_f32 v76, v38, v10, -v5
	v_mul_f32_e32 v5, v19, v49
	v_fmac_f32_e32 v30, v38, v11
	v_fma_f32 v38, v46, v12, -v39
	v_fmac_f32_e32 v47, v46, v13
	v_fma_f32 v39, v18, v48, -v5
	v_mul_f32_e32 v46, v18, v49
	v_fmac_f32_e32 v46, v19, v48
	v_sub_f32_e32 v4, v58, v4
	v_fma_f32 v10, v58, 2.0, -v4
	v_sub_f32_e32 v12, v6, v76
	v_sub_f32_e32 v13, v7, v30
	v_fma_f32 v6, v6, 2.0, -v12
	v_fma_f32 v7, v7, 2.0, -v13
	v_sub_f32_e32 v18, v8, v38
	v_sub_f32_e32 v19, v9, v47
	v_fma_f32 v8, v8, 2.0, -v18
	v_fma_f32 v9, v9, 2.0, -v19
	v_mul_f32_e32 v5, v21, v51
	v_fma_f32 v48, v20, v50, -v5
	v_mul_f32_e32 v49, v20, v51
	v_mul_f32_e32 v5, v27, v53
	v_fmac_f32_e32 v49, v21, v50
	v_fma_f32 v50, v26, v52, -v5
	v_mul_f32_e32 v51, v26, v53
	v_mul_f32_e32 v5, v29, v55
	v_sub_f32_e32 v21, v15, v46
	v_mov_b32_e32 v46, 0x110
	v_fmac_f32_e32 v51, v27, v52
	v_fma_f32 v52, v28, v54, -v5
	v_mul_f32_e32 v53, v28, v55
	v_mul_f32_e32 v5, v61, v57
	v_cndmask_b32_e64 v46, 0, v46, s[0:1]
	v_fmac_f32_e32 v53, v29, v54
	v_fma_f32 v54, v60, v56, -v5
	v_sub_f32_e32 v5, v59, v31
	v_add_u32_e32 v46, 0, v46
	v_fma_f32 v11, v59, 2.0, -v5
	v_add3_u32 v0, v46, v0, v44
	ds_write2_b64 v0, v[10:11], v[4:5] offset1:17
	v_mad_u32_u24 v0, v62, s4, 0
	v_add3_u32 v0, v0, v63, v44
	ds_write2_b64 v0, v[6:7], v[12:13] offset1:17
	v_mad_u32_u24 v0, v64, s4, 0
	v_add3_u32 v0, v0, v65, v44
	v_sub_f32_e32 v20, v14, v39
	ds_write2_b64 v0, v[8:9], v[18:19] offset1:17
	v_mad_u32_u24 v0, v66, s4, 0
	v_fma_f32 v14, v14, 2.0, -v20
	v_fma_f32 v15, v15, 2.0, -v21
	v_add3_u32 v0, v0, v67, v44
	v_sub_f32_e32 v26, v16, v48
	v_sub_f32_e32 v27, v17, v49
	ds_write2_b64 v0, v[14:15], v[20:21] offset1:17
	v_mad_u32_u24 v0, v68, s4, 0
	v_fma_f32 v16, v16, 2.0, -v26
	v_fma_f32 v17, v17, 2.0, -v27
	v_add3_u32 v0, v0, v69, v44
	v_sub_f32_e32 v28, v22, v50
	v_sub_f32_e32 v29, v23, v51
	ds_write2_b64 v0, v[16:17], v[26:27] offset1:17
	v_mad_u32_u24 v0, v70, s4, 0
	v_fma_f32 v22, v22, 2.0, -v28
	v_fma_f32 v23, v23, 2.0, -v29
	v_add3_u32 v0, v0, v71, v44
	v_mul_f32_e32 v55, v60, v57
	v_sub_f32_e32 v30, v24, v52
	v_sub_f32_e32 v31, v25, v53
	ds_write2_b64 v0, v[22:23], v[28:29] offset1:17
	v_mad_u32_u24 v0, v72, s4, 0
	v_fmac_f32_e32 v55, v61, v56
	v_fma_f32 v24, v24, 2.0, -v30
	v_fma_f32 v25, v25, 2.0, -v31
	v_add3_u32 v0, v0, v73, v44
	v_sub_f32_e32 v38, v2, v54
	v_sub_f32_e32 v39, v3, v55
	ds_write2_b64 v0, v[24:25], v[30:31] offset1:17
	v_mad_u32_u24 v0, v74, s4, 0
	v_fma_f32 v2, v2, 2.0, -v38
	v_fma_f32 v3, v3, 2.0, -v39
	v_add3_u32 v0, v0, v75, v44
	ds_write2_b64 v0, v[2:3], v[38:39] offset1:17
	v_mul_u32_u24_e32 v0, 15, v34
	v_lshlrev_b32_e32 v0, 3, v0
	s_waitcnt lgkmcnt(0)
	s_barrier
	global_load_dwordx4 v[2:5], v0, s[12:13] offset:136
	global_load_dwordx4 v[6:9], v0, s[12:13] offset:152
	;; [unrolled: 1-line block ×7, first 2 shown]
	global_load_dwordx2 v[30:31], v0, s[12:13] offset:248
	ds_read_b64 v[38:39], v41
	ds_read2_b64 v[46:49], v43 offset0:34 offset1:68
	ds_read2_b64 v[50:53], v43 offset0:102 offset1:136
	ds_read2_b32 v[44:45], v45 offset0:84 offset1:85
	ds_read2_b64 v[54:57], v43 offset0:204 offset1:238
	ds_read2_b64 v[58:61], v42 offset0:16 offset1:50
	;; [unrolled: 1-line block ×5, first 2 shown]
	s_waitcnt vmcnt(0) lgkmcnt(0)
	s_barrier
	v_cmp_ne_u32_e64 s[0:1], 0, v34
	v_mul_f32_e32 v0, v3, v47
	v_mul_f32_e32 v3, v3, v46
	v_fma_f32 v0, v2, v46, -v0
	v_fmac_f32_e32 v3, v2, v47
	v_mul_f32_e32 v2, v5, v49
	v_mul_f32_e32 v5, v5, v48
	v_fma_f32 v2, v4, v48, -v2
	v_fmac_f32_e32 v5, v4, v49
	v_mul_f32_e32 v4, v7, v51
	v_mul_f32_e32 v7, v7, v50
	v_fma_f32 v4, v6, v50, -v4
	v_fmac_f32_e32 v7, v6, v51
	v_mul_f32_e32 v6, v9, v53
	v_mul_f32_e32 v9, v9, v52
	v_fma_f32 v6, v8, v52, -v6
	v_fmac_f32_e32 v9, v8, v53
	v_mul_f32_e32 v8, v45, v11
	v_mul_f32_e32 v11, v11, v44
	v_fma_f32 v8, v10, v44, -v8
	v_fmac_f32_e32 v11, v45, v10
	v_mul_f32_e32 v10, v55, v13
	v_mul_f32_e32 v13, v54, v13
	v_fma_f32 v10, v54, v12, -v10
	v_fmac_f32_e32 v13, v55, v12
	v_mul_f32_e32 v12, v57, v15
	v_mul_f32_e32 v15, v56, v15
	v_fma_f32 v12, v56, v14, -v12
	v_fmac_f32_e32 v15, v57, v14
	v_mul_f32_e32 v14, v59, v17
	v_mul_f32_e32 v17, v58, v17
	v_fma_f32 v14, v58, v16, -v14
	v_fmac_f32_e32 v17, v59, v16
	v_mul_f32_e32 v16, v61, v19
	v_mul_f32_e32 v19, v60, v19
	v_fma_f32 v16, v60, v18, -v16
	v_fmac_f32_e32 v19, v61, v18
	v_mul_f32_e32 v18, v63, v21
	v_mul_f32_e32 v21, v62, v21
	v_fma_f32 v18, v62, v20, -v18
	v_fmac_f32_e32 v21, v63, v20
	v_mul_f32_e32 v20, v65, v23
	v_mul_f32_e32 v23, v64, v23
	v_fma_f32 v20, v64, v22, -v20
	v_fmac_f32_e32 v23, v65, v22
	v_mul_f32_e32 v22, v67, v25
	v_mul_f32_e32 v25, v66, v25
	v_fma_f32 v22, v66, v24, -v22
	v_fmac_f32_e32 v25, v67, v24
	v_mul_f32_e32 v24, v69, v27
	v_mul_f32_e32 v27, v68, v27
	v_fma_f32 v24, v68, v26, -v24
	v_fmac_f32_e32 v27, v69, v26
	v_mul_f32_e32 v26, v71, v29
	v_mul_f32_e32 v29, v70, v29
	v_fma_f32 v26, v70, v28, -v26
	v_fmac_f32_e32 v29, v71, v28
	v_mul_f32_e32 v28, v73, v31
	v_mul_f32_e32 v31, v72, v31
	v_sub_f32_e32 v14, v38, v14
	v_sub_f32_e32 v17, v39, v17
	;; [unrolled: 1-line block ×8, first 2 shown]
	v_fma_f32 v28, v72, v30, -v28
	v_fmac_f32_e32 v31, v73, v30
	v_fma_f32 v30, v38, 2.0, -v14
	v_fma_f32 v38, v39, 2.0, -v17
	;; [unrolled: 1-line block ×8, first 2 shown]
	v_sub_f32_e32 v6, v30, v6
	v_sub_f32_e32 v9, v38, v9
	;; [unrolled: 1-line block ×6, first 2 shown]
	v_fma_f32 v30, v30, 2.0, -v6
	v_fma_f32 v38, v38, 2.0, -v9
	v_sub_f32_e32 v25, v14, v25
	v_add_f32_e32 v22, v17, v22
	v_fma_f32 v2, v2, 2.0, -v10
	v_fma_f32 v5, v5, 2.0, -v13
	v_sub_f32_e32 v19, v3, v19
	v_sub_f32_e32 v24, v8, v24
	v_fma_f32 v11, v11, 2.0, -v27
	v_sub_f32_e32 v20, v4, v20
	v_sub_f32_e32 v31, v15, v31
	v_fma_f32 v14, v14, 2.0, -v25
	v_sub_f32_e32 v29, v18, v29
	v_add_f32_e32 v26, v21, v26
	v_sub_f32_e32 v27, v16, v27
	v_sub_f32_e32 v39, v30, v2
	;; [unrolled: 1-line block ×3, first 2 shown]
	v_mov_b32_e32 v49, v22
	v_fma_f32 v0, v0, 2.0, -v16
	v_fma_f32 v8, v8, 2.0, -v24
	v_sub_f32_e32 v23, v7, v23
	v_sub_f32_e32 v28, v12, v28
	v_fma_f32 v15, v15, 2.0, -v31
	v_fma_f32 v17, v17, 2.0, -v22
	;; [unrolled: 1-line block ×3, first 2 shown]
	v_add_f32_e32 v24, v19, v24
	v_fma_f32 v16, v16, 2.0, -v27
	v_sub_f32_e32 v31, v20, v31
	v_fma_f32 v5, v30, 2.0, -v39
	v_fma_f32 v30, v38, 2.0, -v44
	v_mov_b32_e32 v38, v14
	v_mov_b32_e32 v48, v25
	v_fmac_f32_e32 v49, 0x3f3504f3, v26
	v_fma_f32 v3, v3, 2.0, -v19
	v_fma_f32 v4, v4, 2.0, -v20
	;; [unrolled: 1-line block ×5, first 2 shown]
	v_add_f32_e32 v28, v23, v28
	v_fma_f32 v20, v20, 2.0, -v31
	v_fmac_f32_e32 v38, 0xbf3504f3, v18
	v_mov_b32_e32 v45, v17
	v_fmac_f32_e32 v48, 0x3f3504f3, v29
	v_fmac_f32_e32 v49, 0x3f3504f3, v29
	v_mov_b32_e32 v29, v16
	v_fma_f32 v7, v7, 2.0, -v23
	v_fma_f32 v23, v23, 2.0, -v28
	v_fmac_f32_e32 v45, 0xbf3504f3, v21
	v_fmac_f32_e32 v38, 0xbf3504f3, v21
	;; [unrolled: 1-line block ×3, first 2 shown]
	v_mov_b32_e32 v50, v19
	v_sub_f32_e32 v11, v3, v11
	v_sub_f32_e32 v15, v7, v15
	v_fmac_f32_e32 v45, 0x3f3504f3, v18
	v_fma_f32 v14, v14, 2.0, -v38
	v_sub_f32_e32 v46, v6, v13
	v_add_f32_e32 v47, v9, v10
	v_fmac_f32_e32 v50, 0xbf3504f3, v23
	v_fmac_f32_e32 v29, 0xbf3504f3, v23
	v_sub_f32_e32 v8, v0, v8
	v_fma_f32 v3, v3, 2.0, -v11
	v_fma_f32 v7, v7, 2.0, -v15
	v_fma_f32 v17, v17, 2.0, -v45
	v_fma_f32 v13, v6, 2.0, -v46
	v_fma_f32 v18, v9, 2.0, -v47
	v_fmac_f32_e32 v50, 0x3f3504f3, v20
	v_fma_f32 v9, v16, 2.0, -v29
	v_mov_b32_e32 v6, v14
	v_sub_f32_e32 v12, v4, v12
	v_fmac_f32_e32 v48, 0xbf3504f3, v26
	v_sub_f32_e32 v26, v3, v7
	v_fma_f32 v10, v19, 2.0, -v50
	v_sub_f32_e32 v51, v8, v15
	v_mov_b32_e32 v54, v24
	v_fmac_f32_e32 v6, 0xbf6c835e, v9
	v_mov_b32_e32 v7, v17
	v_fma_f32 v4, v4, 2.0, -v12
	v_add_f32_e32 v52, v11, v12
	v_fma_f32 v12, v8, 2.0, -v51
	v_mov_b32_e32 v53, v27
	v_fmac_f32_e32 v54, 0x3f3504f3, v28
	v_fmac_f32_e32 v7, 0xbf6c835e, v10
	;; [unrolled: 1-line block ×3, first 2 shown]
	v_mov_b32_e32 v10, v13
	v_fma_f32 v0, v0, 2.0, -v8
	v_fma_f32 v22, v22, 2.0, -v49
	;; [unrolled: 1-line block ×3, first 2 shown]
	v_fmac_f32_e32 v53, 0x3f3504f3, v31
	v_fmac_f32_e32 v54, 0x3f3504f3, v31
	;; [unrolled: 1-line block ×3, first 2 shown]
	v_mov_b32_e32 v11, v18
	v_fma_f32 v21, v25, 2.0, -v48
	v_sub_f32_e32 v25, v0, v4
	v_fmac_f32_e32 v53, 0xbf3504f3, v28
	v_fma_f32 v19, v24, 2.0, -v54
	v_fmac_f32_e32 v11, 0xbf3504f3, v15
	v_fmac_f32_e32 v10, 0xbf3504f3, v15
	v_mov_b32_e32 v15, v22
	v_fma_f32 v0, v0, 2.0, -v25
	v_fma_f32 v3, v3, 2.0, -v26
	;; [unrolled: 1-line block ×3, first 2 shown]
	v_fmac_f32_e32 v15, 0xbec3ef15, v19
	v_sub_f32_e32 v2, v5, v0
	v_sub_f32_e32 v3, v30, v3
	v_fmac_f32_e32 v7, 0x3ec3ef15, v9
	v_fmac_f32_e32 v11, 0x3f3504f3, v12
	;; [unrolled: 1-line block ×3, first 2 shown]
	v_fma_f32 v4, v5, 2.0, -v2
	v_fma_f32 v5, v30, 2.0, -v3
	;; [unrolled: 1-line block ×6, first 2 shown]
	v_mov_b32_e32 v14, v21
	v_fma_f32 v17, v22, 2.0, -v15
	v_sub_f32_e32 v18, v39, v26
	v_mov_b32_e32 v22, v38
	v_mov_b32_e32 v23, v45
	;; [unrolled: 1-line block ×6, first 2 shown]
	v_fmac_f32_e32 v14, 0xbec3ef15, v16
	v_fmac_f32_e32 v22, 0x3ec3ef15, v29
	;; [unrolled: 1-line block ×8, first 2 shown]
	v_add_f32_e32 v19, v44, v25
	v_fmac_f32_e32 v22, 0xbf6c835e, v50
	v_fmac_f32_e32 v23, 0x3f6c835e, v29
	;; [unrolled: 1-line block ×6, first 2 shown]
	v_fma_f32 v16, v21, 2.0, -v14
	v_fma_f32 v20, v39, 2.0, -v18
	;; [unrolled: 1-line block ×9, first 2 shown]
	ds_write2_b64 v43, v[4:5], v[8:9] offset1:34
	ds_write2_b64 v43, v[12:13], v[16:17] offset0:68 offset1:102
	ds_write2_b64 v43, v[20:21], v[24:25] offset0:136 offset1:170
	;; [unrolled: 1-line block ×7, first 2 shown]
	s_waitcnt lgkmcnt(0)
	s_barrier
	ds_read_b64 v[2:3], v41
	v_sub_u32_e32 v0, v40, v35
                                        ; implicit-def: $vgpr7
                                        ; implicit-def: $vgpr6
                                        ; implicit-def: $vgpr4_vgpr5
	s_and_saveexec_b64 s[4:5], s[0:1]
	s_xor_b64 s[4:5], exec, s[4:5]
	s_cbranch_execz .LBB0_16
; %bb.15:
	v_mov_b32_e32 v35, v1
	v_lshlrev_b64 v[4:5], 3, v[34:35]
	v_mov_b32_e32 v1, s7
	v_add_co_u32_e64 v4, s[0:1], s6, v4
	v_addc_co_u32_e64 v5, s[0:1], v1, v5, s[0:1]
	global_load_dwordx2 v[4:5], v[4:5], off
	ds_read_b64 v[6:7], v0 offset:4352
	s_waitcnt lgkmcnt(0)
	v_add_f32_e32 v1, v6, v2
	v_add_f32_e32 v8, v7, v3
	v_sub_f32_e32 v2, v2, v6
	v_sub_f32_e32 v3, v3, v7
	v_mul_f32_e32 v7, 0.5, v8
	v_mul_f32_e32 v2, 0.5, v2
	;; [unrolled: 1-line block ×3, first 2 shown]
	s_waitcnt vmcnt(0)
	v_mul_f32_e32 v8, v5, v2
	v_fma_f32 v9, v7, v5, v3
	v_fma_f32 v3, v7, v5, -v3
	v_fma_f32 v6, 0.5, v1, v8
	v_fma_f32 v5, -v4, v2, v9
	v_fma_f32 v1, v1, 0.5, -v8
	v_fma_f32 v2, -v4, v2, v3
	v_fmac_f32_e32 v6, v4, v7
	ds_write_b32 v41, v5 offset:4
	v_fma_f32 v7, -v4, v7, v1
	v_mov_b32_e32 v4, v34
	ds_write_b32 v0, v2 offset:4356
	v_mov_b32_e32 v5, v35
                                        ; implicit-def: $vgpr2_vgpr3
.LBB0_16:
	s_andn2_saveexec_b64 s[0:1], s[4:5]
	s_cbranch_execz .LBB0_18
; %bb.17:
	v_mov_b32_e32 v1, 0
	ds_write_b32 v41, v1 offset:4
	ds_write_b32 v0, v1 offset:4356
	ds_read_b32 v1, v40 offset:2180
	v_mov_b32_e32 v4, 0
	s_waitcnt lgkmcnt(3)
	v_add_f32_e32 v6, v2, v3
	v_sub_f32_e32 v7, v2, v3
	v_mov_b32_e32 v5, 0
	s_waitcnt lgkmcnt(0)
	v_xor_b32_e32 v1, 0x80000000, v1
	ds_write_b32 v40, v1 offset:2180
.LBB0_18:
	s_or_b64 exec, exec, s[0:1]
	s_waitcnt lgkmcnt(0)
	v_lshlrev_b64 v[1:2], 3, v[4:5]
	v_mov_b32_e32 v3, s7
	v_add_co_u32_e64 v1, s[0:1], s6, v1
	v_addc_co_u32_e64 v2, s[0:1], v3, v2, s[0:1]
	global_load_dwordx2 v[3:4], v[1:2], off offset:272
	global_load_dwordx2 v[8:9], v[1:2], off offset:544
	;; [unrolled: 1-line block ×3, first 2 shown]
	ds_write_b32 v41, v6
	ds_write_b32 v0, v7 offset:4352
	ds_read_b64 v[5:6], v41 offset:272
	ds_read_b64 v[12:13], v0 offset:4080
	global_load_dwordx2 v[14:15], v[1:2], off offset:1088
	s_waitcnt lgkmcnt(0)
	v_add_f32_e32 v7, v5, v12
	v_sub_f32_e32 v5, v5, v12
	v_add_f32_e32 v16, v6, v13
	v_sub_f32_e32 v6, v6, v13
	v_mul_f32_e32 v5, 0.5, v5
	v_mul_f32_e32 v12, 0.5, v16
	v_mul_f32_e32 v6, 0.5, v6
	s_waitcnt vmcnt(3)
	v_mul_f32_e32 v13, v4, v5
	v_fma_f32 v16, v12, v4, v6
	v_fma_f32 v4, v12, v4, -v6
	v_fma_f32 v6, 0.5, v7, v13
	v_fma_f32 v16, -v3, v5, v16
	v_fma_f32 v7, v7, 0.5, -v13
	v_fmac_f32_e32 v6, v3, v12
	v_fma_f32 v4, -v3, v5, v4
	v_fma_f32 v3, -v3, v12, v7
	ds_write2_b32 v41, v6, v16 offset0:68 offset1:69
	ds_write_b64 v0, v[3:4] offset:4080
	ds_read_b64 v[3:4], v41 offset:544
	ds_read_b64 v[5:6], v0 offset:3808
	global_load_dwordx2 v[12:13], v[1:2], off offset:1360
	s_waitcnt lgkmcnt(0)
	v_add_f32_e32 v7, v3, v5
	v_sub_f32_e32 v3, v3, v5
	v_add_f32_e32 v16, v4, v6
	v_sub_f32_e32 v4, v4, v6
	v_mul_f32_e32 v3, 0.5, v3
	v_mul_f32_e32 v5, 0.5, v16
	v_mul_f32_e32 v4, 0.5, v4
	s_waitcnt vmcnt(3)
	v_mul_f32_e32 v6, v9, v3
	v_fma_f32 v16, v5, v9, v4
	v_fma_f32 v4, v5, v9, -v4
	v_fma_f32 v9, 0.5, v7, v6
	v_fma_f32 v16, -v8, v3, v16
	v_fma_f32 v6, v7, 0.5, -v6
	v_fmac_f32_e32 v9, v8, v5
	v_fma_f32 v4, -v8, v3, v4
	v_fma_f32 v3, -v8, v5, v6
	ds_write2_b32 v41, v9, v16 offset0:136 offset1:137
	ds_write_b64 v0, v[3:4] offset:3808
	;; [unrolled: 23-line block ×3, first 2 shown]
	ds_read_b64 v[3:4], v41 offset:1088
	ds_read_b64 v[5:6], v0 offset:3264
	global_load_dwordx2 v[1:2], v[1:2], off offset:1904
	v_add_u32_e32 v9, 0x400, v41
	s_waitcnt lgkmcnt(0)
	v_add_f32_e32 v10, v3, v5
	v_sub_f32_e32 v3, v3, v5
	v_add_f32_e32 v11, v4, v6
	v_sub_f32_e32 v4, v4, v6
	v_mul_f32_e32 v3, 0.5, v3
	v_mul_f32_e32 v5, 0.5, v11
	v_mul_f32_e32 v4, 0.5, v4
	s_waitcnt vmcnt(3)
	v_mul_f32_e32 v6, v15, v3
	v_fma_f32 v11, v5, v15, v4
	v_fma_f32 v4, v5, v15, -v4
	v_fma_f32 v15, 0.5, v10, v6
	v_fma_f32 v11, -v14, v3, v11
	v_fma_f32 v6, v10, 0.5, -v6
	v_fmac_f32_e32 v15, v14, v5
	v_fma_f32 v4, -v14, v3, v4
	v_fma_f32 v3, -v14, v5, v6
	ds_write2_b32 v9, v15, v11 offset0:16 offset1:17
	ds_write_b64 v0, v[3:4] offset:3264
	ds_read_b64 v[3:4], v41 offset:1360
	ds_read_b64 v[5:6], v0 offset:2992
	s_waitcnt lgkmcnt(0)
	v_add_f32_e32 v10, v3, v5
	v_sub_f32_e32 v3, v3, v5
	v_add_f32_e32 v11, v4, v6
	v_sub_f32_e32 v4, v4, v6
	v_mul_f32_e32 v3, 0.5, v3
	v_mul_f32_e32 v5, 0.5, v11
	v_mul_f32_e32 v4, 0.5, v4
	s_waitcnt vmcnt(2)
	v_mul_f32_e32 v6, v13, v3
	v_fma_f32 v11, v5, v13, v4
	v_fma_f32 v4, v5, v13, -v4
	v_fma_f32 v13, 0.5, v10, v6
	v_fma_f32 v11, -v12, v3, v11
	v_fma_f32 v6, v10, 0.5, -v6
	v_fmac_f32_e32 v13, v12, v5
	v_fma_f32 v4, -v12, v3, v4
	v_fma_f32 v3, -v12, v5, v6
	ds_write2_b32 v9, v13, v11 offset0:84 offset1:85
	ds_write_b64 v0, v[3:4] offset:2992
	ds_read_b64 v[3:4], v41 offset:1632
	ds_read_b64 v[5:6], v0 offset:2720
	;; [unrolled: 22-line block ×3, first 2 shown]
	s_waitcnt lgkmcnt(0)
	v_add_f32_e32 v7, v3, v5
	v_sub_f32_e32 v3, v3, v5
	v_add_f32_e32 v8, v4, v6
	v_sub_f32_e32 v4, v4, v6
	v_mul_f32_e32 v6, 0.5, v3
	v_mul_f32_e32 v5, 0.5, v8
	;; [unrolled: 1-line block ×3, first 2 shown]
	s_waitcnt vmcnt(0)
	v_mul_f32_e32 v3, v2, v6
	v_fma_f32 v8, v5, v2, v4
	v_fma_f32 v10, 0.5, v7, v3
	v_fma_f32 v8, -v1, v6, v8
	v_fma_f32 v3, v7, 0.5, -v3
	v_fmac_f32_e32 v10, v1, v5
	v_fma_f32 v2, v5, v2, -v4
	v_fma_f32 v3, -v1, v5, v3
	v_fma_f32 v4, -v1, v6, v2
	ds_write2_b32 v9, v10, v8 offset0:220 offset1:221
	ds_write_b64 v0, v[3:4] offset:2448
	s_waitcnt lgkmcnt(0)
	s_barrier
	s_and_saveexec_b64 s[0:1], vcc
	s_cbranch_execz .LBB0_21
; %bb.19:
	v_mul_lo_u32 v0, s3, v36
	v_mul_lo_u32 v3, s2, v37
	v_mad_u64_u32 v[1:2], s[0:1], s2, v36, 0
	v_mov_b32_e32 v7, s11
	v_mov_b32_e32 v35, 0
	v_add3_u32 v2, v2, v3, v0
	v_lshlrev_b64 v[1:2], 3, v[1:2]
	v_lshl_add_u32 v0, v34, 3, v40
	v_add_co_u32_e32 v1, vcc, s10, v1
	v_addc_co_u32_e32 v9, vcc, v7, v2, vcc
	v_lshlrev_b64 v[7:8], 3, v[32:33]
	ds_read2_b64 v[3:6], v0 offset1:34
	v_add_co_u32_e32 v2, vcc, v1, v7
	v_addc_co_u32_e32 v1, vcc, v9, v8, vcc
	v_lshlrev_b64 v[7:8], 3, v[34:35]
	v_add_u32_e32 v9, 0x800, v0
	v_add_co_u32_e32 v7, vcc, v2, v7
	v_addc_co_u32_e32 v8, vcc, v1, v8, vcc
	s_waitcnt lgkmcnt(0)
	global_store_dwordx2 v[7:8], v[3:4], off
	v_add_u32_e32 v3, 34, v34
	v_mov_b32_e32 v4, v35
	v_lshlrev_b64 v[3:4], 3, v[3:4]
	v_add_u32_e32 v7, 0x44, v34
	v_add_co_u32_e32 v3, vcc, v2, v3
	v_addc_co_u32_e32 v4, vcc, v1, v4, vcc
	global_store_dwordx2 v[3:4], v[5:6], off
	v_mov_b32_e32 v8, v35
	ds_read2_b64 v[3:6], v0 offset0:68 offset1:102
	v_lshlrev_b64 v[7:8], 3, v[7:8]
	v_add_co_u32_e32 v7, vcc, v2, v7
	v_addc_co_u32_e32 v8, vcc, v1, v8, vcc
	s_waitcnt lgkmcnt(0)
	global_store_dwordx2 v[7:8], v[3:4], off
	v_add_u32_e32 v3, 0x66, v34
	v_mov_b32_e32 v4, v35
	v_lshlrev_b64 v[3:4], 3, v[3:4]
	v_add_u32_e32 v7, 0x88, v34
	v_add_co_u32_e32 v3, vcc, v2, v3
	v_addc_co_u32_e32 v4, vcc, v1, v4, vcc
	global_store_dwordx2 v[3:4], v[5:6], off
	v_mov_b32_e32 v8, v35
	ds_read2_b64 v[3:6], v0 offset0:136 offset1:170
	v_lshlrev_b64 v[7:8], 3, v[7:8]
	;; [unrolled: 14-line block ×7, first 2 shown]
	v_add_co_u32_e32 v7, vcc, v2, v7
	v_addc_co_u32_e32 v8, vcc, v1, v8, vcc
	s_waitcnt lgkmcnt(0)
	global_store_dwordx2 v[7:8], v[3:4], off
	v_add_u32_e32 v3, 0x1fe, v34
	v_mov_b32_e32 v4, v35
	v_lshlrev_b64 v[3:4], 3, v[3:4]
	v_add_co_u32_e32 v3, vcc, v2, v3
	v_addc_co_u32_e32 v4, vcc, v1, v4, vcc
	v_cmp_eq_u32_e32 vcc, 33, v34
	global_store_dwordx2 v[3:4], v[5:6], off
	s_and_b64 exec, exec, vcc
	s_cbranch_execz .LBB0_21
; %bb.20:
	ds_read_b64 v[3:4], v0 offset:4088
	v_add_co_u32_e32 v0, vcc, 0x1000, v2
	v_addc_co_u32_e32 v1, vcc, 0, v1, vcc
	s_waitcnt lgkmcnt(0)
	global_store_dwordx2 v[0:1], v[3:4], off offset:256
.LBB0_21:
	s_endpgm
	.section	.rodata,"a",@progbits
	.p2align	6, 0x0
	.amdhsa_kernel fft_rtc_fwd_len544_factors_17_2_16_wgs_102_tpt_34_halfLds_sp_op_CI_CI_unitstride_sbrr_R2C_dirReg
		.amdhsa_group_segment_fixed_size 0
		.amdhsa_private_segment_fixed_size 0
		.amdhsa_kernarg_size 104
		.amdhsa_user_sgpr_count 6
		.amdhsa_user_sgpr_private_segment_buffer 1
		.amdhsa_user_sgpr_dispatch_ptr 0
		.amdhsa_user_sgpr_queue_ptr 0
		.amdhsa_user_sgpr_kernarg_segment_ptr 1
		.amdhsa_user_sgpr_dispatch_id 0
		.amdhsa_user_sgpr_flat_scratch_init 0
		.amdhsa_user_sgpr_private_segment_size 0
		.amdhsa_uses_dynamic_stack 0
		.amdhsa_system_sgpr_private_segment_wavefront_offset 0
		.amdhsa_system_sgpr_workgroup_id_x 1
		.amdhsa_system_sgpr_workgroup_id_y 0
		.amdhsa_system_sgpr_workgroup_id_z 0
		.amdhsa_system_sgpr_workgroup_info 0
		.amdhsa_system_vgpr_workitem_id 0
		.amdhsa_next_free_vgpr 157
		.amdhsa_next_free_sgpr 28
		.amdhsa_reserve_vcc 1
		.amdhsa_reserve_flat_scratch 0
		.amdhsa_float_round_mode_32 0
		.amdhsa_float_round_mode_16_64 0
		.amdhsa_float_denorm_mode_32 3
		.amdhsa_float_denorm_mode_16_64 3
		.amdhsa_dx10_clamp 1
		.amdhsa_ieee_mode 1
		.amdhsa_fp16_overflow 0
		.amdhsa_exception_fp_ieee_invalid_op 0
		.amdhsa_exception_fp_denorm_src 0
		.amdhsa_exception_fp_ieee_div_zero 0
		.amdhsa_exception_fp_ieee_overflow 0
		.amdhsa_exception_fp_ieee_underflow 0
		.amdhsa_exception_fp_ieee_inexact 0
		.amdhsa_exception_int_div_zero 0
	.end_amdhsa_kernel
	.text
.Lfunc_end0:
	.size	fft_rtc_fwd_len544_factors_17_2_16_wgs_102_tpt_34_halfLds_sp_op_CI_CI_unitstride_sbrr_R2C_dirReg, .Lfunc_end0-fft_rtc_fwd_len544_factors_17_2_16_wgs_102_tpt_34_halfLds_sp_op_CI_CI_unitstride_sbrr_R2C_dirReg
                                        ; -- End function
	.section	.AMDGPU.csdata,"",@progbits
; Kernel info:
; codeLenInByte = 11524
; NumSgprs: 32
; NumVgprs: 157
; ScratchSize: 0
; MemoryBound: 0
; FloatMode: 240
; IeeeMode: 1
; LDSByteSize: 0 bytes/workgroup (compile time only)
; SGPRBlocks: 3
; VGPRBlocks: 39
; NumSGPRsForWavesPerEU: 32
; NumVGPRsForWavesPerEU: 157
; Occupancy: 1
; WaveLimiterHint : 1
; COMPUTE_PGM_RSRC2:SCRATCH_EN: 0
; COMPUTE_PGM_RSRC2:USER_SGPR: 6
; COMPUTE_PGM_RSRC2:TRAP_HANDLER: 0
; COMPUTE_PGM_RSRC2:TGID_X_EN: 1
; COMPUTE_PGM_RSRC2:TGID_Y_EN: 0
; COMPUTE_PGM_RSRC2:TGID_Z_EN: 0
; COMPUTE_PGM_RSRC2:TIDIG_COMP_CNT: 0
	.type	__hip_cuid_f8f3d37a40592673,@object ; @__hip_cuid_f8f3d37a40592673
	.section	.bss,"aw",@nobits
	.globl	__hip_cuid_f8f3d37a40592673
__hip_cuid_f8f3d37a40592673:
	.byte	0                               ; 0x0
	.size	__hip_cuid_f8f3d37a40592673, 1

	.ident	"AMD clang version 19.0.0git (https://github.com/RadeonOpenCompute/llvm-project roc-6.4.0 25133 c7fe45cf4b819c5991fe208aaa96edf142730f1d)"
	.section	".note.GNU-stack","",@progbits
	.addrsig
	.addrsig_sym __hip_cuid_f8f3d37a40592673
	.amdgpu_metadata
---
amdhsa.kernels:
  - .args:
      - .actual_access:  read_only
        .address_space:  global
        .offset:         0
        .size:           8
        .value_kind:     global_buffer
      - .offset:         8
        .size:           8
        .value_kind:     by_value
      - .actual_access:  read_only
        .address_space:  global
        .offset:         16
        .size:           8
        .value_kind:     global_buffer
      - .actual_access:  read_only
        .address_space:  global
        .offset:         24
        .size:           8
        .value_kind:     global_buffer
      - .actual_access:  read_only
        .address_space:  global
        .offset:         32
        .size:           8
        .value_kind:     global_buffer
      - .offset:         40
        .size:           8
        .value_kind:     by_value
      - .actual_access:  read_only
        .address_space:  global
        .offset:         48
        .size:           8
        .value_kind:     global_buffer
      - .actual_access:  read_only
        .address_space:  global
        .offset:         56
        .size:           8
        .value_kind:     global_buffer
      - .offset:         64
        .size:           4
        .value_kind:     by_value
      - .actual_access:  read_only
        .address_space:  global
        .offset:         72
        .size:           8
        .value_kind:     global_buffer
      - .actual_access:  read_only
        .address_space:  global
        .offset:         80
        .size:           8
        .value_kind:     global_buffer
      - .actual_access:  read_only
        .address_space:  global
        .offset:         88
        .size:           8
        .value_kind:     global_buffer
      - .actual_access:  write_only
        .address_space:  global
        .offset:         96
        .size:           8
        .value_kind:     global_buffer
    .group_segment_fixed_size: 0
    .kernarg_segment_align: 8
    .kernarg_segment_size: 104
    .language:       OpenCL C
    .language_version:
      - 2
      - 0
    .max_flat_workgroup_size: 102
    .name:           fft_rtc_fwd_len544_factors_17_2_16_wgs_102_tpt_34_halfLds_sp_op_CI_CI_unitstride_sbrr_R2C_dirReg
    .private_segment_fixed_size: 0
    .sgpr_count:     32
    .sgpr_spill_count: 0
    .symbol:         fft_rtc_fwd_len544_factors_17_2_16_wgs_102_tpt_34_halfLds_sp_op_CI_CI_unitstride_sbrr_R2C_dirReg.kd
    .uniform_work_group_size: 1
    .uses_dynamic_stack: false
    .vgpr_count:     157
    .vgpr_spill_count: 0
    .wavefront_size: 64
amdhsa.target:   amdgcn-amd-amdhsa--gfx906
amdhsa.version:
  - 1
  - 2
...

	.end_amdgpu_metadata
